;; amdgpu-corpus repo=ROCm/rocFFT kind=compiled arch=gfx1201 opt=O3
	.text
	.amdgcn_target "amdgcn-amd-amdhsa--gfx1201"
	.amdhsa_code_object_version 6
	.protected	fft_rtc_back_len1080_factors_6_10_6_3_wgs_216_tpt_108_halfLds_dp_op_CI_CI_unitstride_sbrr_R2C_dirReg ; -- Begin function fft_rtc_back_len1080_factors_6_10_6_3_wgs_216_tpt_108_halfLds_dp_op_CI_CI_unitstride_sbrr_R2C_dirReg
	.globl	fft_rtc_back_len1080_factors_6_10_6_3_wgs_216_tpt_108_halfLds_dp_op_CI_CI_unitstride_sbrr_R2C_dirReg
	.p2align	8
	.type	fft_rtc_back_len1080_factors_6_10_6_3_wgs_216_tpt_108_halfLds_dp_op_CI_CI_unitstride_sbrr_R2C_dirReg,@function
fft_rtc_back_len1080_factors_6_10_6_3_wgs_216_tpt_108_halfLds_dp_op_CI_CI_unitstride_sbrr_R2C_dirReg: ; @fft_rtc_back_len1080_factors_6_10_6_3_wgs_216_tpt_108_halfLds_dp_op_CI_CI_unitstride_sbrr_R2C_dirReg
; %bb.0:
	s_clause 0x2
	s_load_b128 s[8:11], s[0:1], 0x0
	s_load_b128 s[4:7], s[0:1], 0x58
	;; [unrolled: 1-line block ×3, first 2 shown]
	v_mul_u32_u24_e32 v1, 0x25f, v0
	v_mov_b32_e32 v3, 0
	s_delay_alu instid0(VALU_DEP_2) | instskip(SKIP_2) | instid1(VALU_DEP_4)
	v_lshrrev_b32_e32 v7, 16, v1
	v_mov_b32_e32 v1, 0
	v_mov_b32_e32 v2, 0
	;; [unrolled: 1-line block ×3, first 2 shown]
	s_delay_alu instid0(VALU_DEP_4) | instskip(SKIP_2) | instid1(VALU_DEP_1)
	v_lshl_add_u32 v5, ttmp9, 1, v7
	s_wait_kmcnt 0x0
	v_cmp_lt_u64_e64 s2, s[10:11], 2
	s_and_b32 vcc_lo, exec_lo, s2
	s_cbranch_vccnz .LBB0_8
; %bb.1:
	s_load_b64 s[2:3], s[0:1], 0x10
	v_mov_b32_e32 v1, 0
	v_mov_b32_e32 v2, 0
	s_add_nc_u64 s[16:17], s[14:15], 8
	s_add_nc_u64 s[18:19], s[12:13], 8
	s_mov_b64 s[20:21], 1
	s_delay_alu instid0(VALU_DEP_1)
	v_dual_mov_b32 v49, v2 :: v_dual_mov_b32 v48, v1
	s_wait_kmcnt 0x0
	s_add_nc_u64 s[22:23], s[2:3], 8
	s_mov_b32 s3, 0
.LBB0_2:                                ; =>This Inner Loop Header: Depth=1
	s_load_b64 s[24:25], s[22:23], 0x0
                                        ; implicit-def: $vgpr52_vgpr53
	s_mov_b32 s2, exec_lo
	s_wait_kmcnt 0x0
	v_or_b32_e32 v4, s25, v6
	s_delay_alu instid0(VALU_DEP_1)
	v_cmpx_ne_u64_e32 0, v[3:4]
	s_wait_alu 0xfffe
	s_xor_b32 s26, exec_lo, s2
	s_cbranch_execz .LBB0_4
; %bb.3:                                ;   in Loop: Header=BB0_2 Depth=1
	s_cvt_f32_u32 s2, s24
	s_cvt_f32_u32 s27, s25
	s_sub_nc_u64 s[30:31], 0, s[24:25]
	s_wait_alu 0xfffe
	s_delay_alu instid0(SALU_CYCLE_1) | instskip(SKIP_1) | instid1(SALU_CYCLE_2)
	s_fmamk_f32 s2, s27, 0x4f800000, s2
	s_wait_alu 0xfffe
	v_s_rcp_f32 s2, s2
	s_delay_alu instid0(TRANS32_DEP_1) | instskip(SKIP_1) | instid1(SALU_CYCLE_2)
	s_mul_f32 s2, s2, 0x5f7ffffc
	s_wait_alu 0xfffe
	s_mul_f32 s27, s2, 0x2f800000
	s_wait_alu 0xfffe
	s_delay_alu instid0(SALU_CYCLE_2) | instskip(SKIP_1) | instid1(SALU_CYCLE_2)
	s_trunc_f32 s27, s27
	s_wait_alu 0xfffe
	s_fmamk_f32 s2, s27, 0xcf800000, s2
	s_cvt_u32_f32 s29, s27
	s_wait_alu 0xfffe
	s_delay_alu instid0(SALU_CYCLE_1) | instskip(SKIP_1) | instid1(SALU_CYCLE_2)
	s_cvt_u32_f32 s28, s2
	s_wait_alu 0xfffe
	s_mul_u64 s[34:35], s[30:31], s[28:29]
	s_wait_alu 0xfffe
	s_mul_hi_u32 s37, s28, s35
	s_mul_i32 s36, s28, s35
	s_mul_hi_u32 s2, s28, s34
	s_mul_i32 s33, s29, s34
	s_wait_alu 0xfffe
	s_add_nc_u64 s[36:37], s[2:3], s[36:37]
	s_mul_hi_u32 s27, s29, s34
	s_mul_hi_u32 s38, s29, s35
	s_add_co_u32 s2, s36, s33
	s_wait_alu 0xfffe
	s_add_co_ci_u32 s2, s37, s27
	s_mul_i32 s34, s29, s35
	s_add_co_ci_u32 s35, s38, 0
	s_wait_alu 0xfffe
	s_add_nc_u64 s[34:35], s[2:3], s[34:35]
	s_wait_alu 0xfffe
	v_add_co_u32 v4, s2, s28, s34
	s_delay_alu instid0(VALU_DEP_1) | instskip(SKIP_1) | instid1(VALU_DEP_1)
	s_cmp_lg_u32 s2, 0
	s_add_co_ci_u32 s29, s29, s35
	v_readfirstlane_b32 s28, v4
	s_wait_alu 0xfffe
	s_delay_alu instid0(VALU_DEP_1)
	s_mul_u64 s[30:31], s[30:31], s[28:29]
	s_wait_alu 0xfffe
	s_mul_hi_u32 s35, s28, s31
	s_mul_i32 s34, s28, s31
	s_mul_hi_u32 s2, s28, s30
	s_mul_i32 s33, s29, s30
	s_wait_alu 0xfffe
	s_add_nc_u64 s[34:35], s[2:3], s[34:35]
	s_mul_hi_u32 s27, s29, s30
	s_mul_hi_u32 s28, s29, s31
	s_wait_alu 0xfffe
	s_add_co_u32 s2, s34, s33
	s_add_co_ci_u32 s2, s35, s27
	s_mul_i32 s30, s29, s31
	s_add_co_ci_u32 s31, s28, 0
	s_wait_alu 0xfffe
	s_add_nc_u64 s[30:31], s[2:3], s[30:31]
	s_wait_alu 0xfffe
	v_add_co_u32 v4, s2, v4, s30
	s_delay_alu instid0(VALU_DEP_1) | instskip(SKIP_1) | instid1(VALU_DEP_1)
	s_cmp_lg_u32 s2, 0
	s_add_co_ci_u32 s2, s29, s31
	v_mul_hi_u32 v14, v5, v4
	s_wait_alu 0xfffe
	v_mad_co_u64_u32 v[8:9], null, v5, s2, 0
	v_mad_co_u64_u32 v[10:11], null, v6, v4, 0
	;; [unrolled: 1-line block ×3, first 2 shown]
	s_delay_alu instid0(VALU_DEP_3) | instskip(SKIP_1) | instid1(VALU_DEP_4)
	v_add_co_u32 v4, vcc_lo, v14, v8
	s_wait_alu 0xfffd
	v_add_co_ci_u32_e32 v8, vcc_lo, 0, v9, vcc_lo
	s_delay_alu instid0(VALU_DEP_2) | instskip(SKIP_1) | instid1(VALU_DEP_2)
	v_add_co_u32 v4, vcc_lo, v4, v10
	s_wait_alu 0xfffd
	v_add_co_ci_u32_e32 v4, vcc_lo, v8, v11, vcc_lo
	s_wait_alu 0xfffd
	v_add_co_ci_u32_e32 v8, vcc_lo, 0, v13, vcc_lo
	s_delay_alu instid0(VALU_DEP_2) | instskip(SKIP_1) | instid1(VALU_DEP_2)
	v_add_co_u32 v4, vcc_lo, v4, v12
	s_wait_alu 0xfffd
	v_add_co_ci_u32_e32 v10, vcc_lo, 0, v8, vcc_lo
	s_delay_alu instid0(VALU_DEP_2) | instskip(SKIP_1) | instid1(VALU_DEP_3)
	v_mul_lo_u32 v11, s25, v4
	v_mad_co_u64_u32 v[8:9], null, s24, v4, 0
	v_mul_lo_u32 v12, s24, v10
	s_delay_alu instid0(VALU_DEP_2) | instskip(NEXT) | instid1(VALU_DEP_2)
	v_sub_co_u32 v8, vcc_lo, v5, v8
	v_add3_u32 v9, v9, v12, v11
	s_delay_alu instid0(VALU_DEP_1) | instskip(SKIP_1) | instid1(VALU_DEP_1)
	v_sub_nc_u32_e32 v11, v6, v9
	s_wait_alu 0xfffd
	v_subrev_co_ci_u32_e64 v11, s2, s25, v11, vcc_lo
	v_add_co_u32 v12, s2, v4, 2
	s_wait_alu 0xf1ff
	v_add_co_ci_u32_e64 v13, s2, 0, v10, s2
	v_sub_co_u32 v14, s2, v8, s24
	v_sub_co_ci_u32_e32 v9, vcc_lo, v6, v9, vcc_lo
	s_wait_alu 0xf1ff
	v_subrev_co_ci_u32_e64 v11, s2, 0, v11, s2
	s_delay_alu instid0(VALU_DEP_3) | instskip(NEXT) | instid1(VALU_DEP_3)
	v_cmp_le_u32_e32 vcc_lo, s24, v14
	v_cmp_eq_u32_e64 s2, s25, v9
	s_wait_alu 0xfffd
	v_cndmask_b32_e64 v14, 0, -1, vcc_lo
	v_cmp_le_u32_e32 vcc_lo, s25, v11
	s_wait_alu 0xfffd
	v_cndmask_b32_e64 v15, 0, -1, vcc_lo
	v_cmp_le_u32_e32 vcc_lo, s24, v8
	;; [unrolled: 3-line block ×3, first 2 shown]
	s_wait_alu 0xfffd
	v_cndmask_b32_e64 v16, 0, -1, vcc_lo
	v_cmp_eq_u32_e32 vcc_lo, s25, v11
	s_wait_alu 0xf1ff
	s_delay_alu instid0(VALU_DEP_2)
	v_cndmask_b32_e64 v8, v16, v8, s2
	s_wait_alu 0xfffd
	v_cndmask_b32_e32 v11, v15, v14, vcc_lo
	v_add_co_u32 v14, vcc_lo, v4, 1
	s_wait_alu 0xfffd
	v_add_co_ci_u32_e32 v15, vcc_lo, 0, v10, vcc_lo
	s_delay_alu instid0(VALU_DEP_3) | instskip(SKIP_2) | instid1(VALU_DEP_3)
	v_cmp_ne_u32_e32 vcc_lo, 0, v11
	s_wait_alu 0xfffd
	v_cndmask_b32_e32 v11, v14, v12, vcc_lo
	v_cndmask_b32_e32 v9, v15, v13, vcc_lo
	v_cmp_ne_u32_e32 vcc_lo, 0, v8
	s_wait_alu 0xfffd
	s_delay_alu instid0(VALU_DEP_2)
	v_dual_cndmask_b32 v52, v4, v11 :: v_dual_cndmask_b32 v53, v10, v9
.LBB0_4:                                ;   in Loop: Header=BB0_2 Depth=1
	s_wait_alu 0xfffe
	s_and_not1_saveexec_b32 s2, s26
	s_cbranch_execz .LBB0_6
; %bb.5:                                ;   in Loop: Header=BB0_2 Depth=1
	v_cvt_f32_u32_e32 v4, s24
	s_sub_co_i32 s26, 0, s24
	v_mov_b32_e32 v53, v3
	s_delay_alu instid0(VALU_DEP_2) | instskip(NEXT) | instid1(TRANS32_DEP_1)
	v_rcp_iflag_f32_e32 v4, v4
	v_mul_f32_e32 v4, 0x4f7ffffe, v4
	s_delay_alu instid0(VALU_DEP_1) | instskip(SKIP_1) | instid1(VALU_DEP_1)
	v_cvt_u32_f32_e32 v4, v4
	s_wait_alu 0xfffe
	v_mul_lo_u32 v8, s26, v4
	s_delay_alu instid0(VALU_DEP_1) | instskip(NEXT) | instid1(VALU_DEP_1)
	v_mul_hi_u32 v8, v4, v8
	v_add_nc_u32_e32 v4, v4, v8
	s_delay_alu instid0(VALU_DEP_1) | instskip(NEXT) | instid1(VALU_DEP_1)
	v_mul_hi_u32 v4, v5, v4
	v_mul_lo_u32 v8, v4, s24
	s_delay_alu instid0(VALU_DEP_1) | instskip(NEXT) | instid1(VALU_DEP_1)
	v_sub_nc_u32_e32 v8, v5, v8
	v_subrev_nc_u32_e32 v10, s24, v8
	v_cmp_le_u32_e32 vcc_lo, s24, v8
	s_wait_alu 0xfffd
	s_delay_alu instid0(VALU_DEP_2) | instskip(NEXT) | instid1(VALU_DEP_1)
	v_dual_cndmask_b32 v8, v8, v10 :: v_dual_add_nc_u32 v9, 1, v4
	v_cndmask_b32_e32 v4, v4, v9, vcc_lo
	s_delay_alu instid0(VALU_DEP_2) | instskip(NEXT) | instid1(VALU_DEP_2)
	v_cmp_le_u32_e32 vcc_lo, s24, v8
	v_add_nc_u32_e32 v9, 1, v4
	s_wait_alu 0xfffd
	s_delay_alu instid0(VALU_DEP_1)
	v_cndmask_b32_e32 v52, v4, v9, vcc_lo
.LBB0_6:                                ;   in Loop: Header=BB0_2 Depth=1
	s_wait_alu 0xfffe
	s_or_b32 exec_lo, exec_lo, s2
	v_mul_lo_u32 v4, v53, s24
	s_delay_alu instid0(VALU_DEP_2)
	v_mul_lo_u32 v10, v52, s25
	s_load_b64 s[26:27], s[18:19], 0x0
	v_mad_co_u64_u32 v[8:9], null, v52, s24, 0
	s_load_b64 s[24:25], s[16:17], 0x0
	s_add_nc_u64 s[20:21], s[20:21], 1
	s_add_nc_u64 s[16:17], s[16:17], 8
	s_wait_alu 0xfffe
	v_cmp_ge_u64_e64 s2, s[20:21], s[10:11]
	s_add_nc_u64 s[18:19], s[18:19], 8
	s_add_nc_u64 s[22:23], s[22:23], 8
	v_add3_u32 v4, v9, v10, v4
	v_sub_co_u32 v5, vcc_lo, v5, v8
	s_wait_alu 0xfffd
	s_delay_alu instid0(VALU_DEP_2) | instskip(SKIP_2) | instid1(VALU_DEP_1)
	v_sub_co_ci_u32_e32 v4, vcc_lo, v6, v4, vcc_lo
	s_and_b32 vcc_lo, exec_lo, s2
	s_wait_kmcnt 0x0
	v_mul_lo_u32 v6, s26, v4
	v_mul_lo_u32 v8, s27, v5
	v_mad_co_u64_u32 v[1:2], null, s26, v5, v[1:2]
	v_mul_lo_u32 v4, s24, v4
	v_mul_lo_u32 v9, s25, v5
	v_mad_co_u64_u32 v[48:49], null, s24, v5, v[48:49]
	s_delay_alu instid0(VALU_DEP_4) | instskip(NEXT) | instid1(VALU_DEP_2)
	v_add3_u32 v2, v8, v2, v6
	v_add3_u32 v49, v9, v49, v4
	s_wait_alu 0xfffe
	s_cbranch_vccnz .LBB0_9
; %bb.7:                                ;   in Loop: Header=BB0_2 Depth=1
	v_dual_mov_b32 v5, v52 :: v_dual_mov_b32 v6, v53
	s_branch .LBB0_2
.LBB0_8:
	v_dual_mov_b32 v49, v2 :: v_dual_mov_b32 v48, v1
	v_dual_mov_b32 v53, v6 :: v_dual_mov_b32 v52, v5
.LBB0_9:
	s_load_b64 s[0:1], s[0:1], 0x28
	v_and_b32_e32 v4, 1, v7
	v_mul_hi_u32 v3, 0x25ed098, v0
	s_lshl_b64 s[10:11], s[10:11], 3
                                        ; implicit-def: $vgpr50
                                        ; implicit-def: $vgpr54
	s_wait_kmcnt 0x0
	v_cmp_gt_u64_e32 vcc_lo, s[0:1], v[52:53]
	v_cmp_le_u64_e64 s1, s[0:1], v[52:53]
	v_cmp_eq_u32_e64 s0, 1, v4
	s_delay_alu instid0(VALU_DEP_2)
	s_and_saveexec_b32 s2, s1
	s_wait_alu 0xfffe
	s_xor_b32 s1, exec_lo, s2
; %bb.10:
	v_mul_u32_u24_e32 v1, 0x6c, v3
                                        ; implicit-def: $vgpr3
	s_delay_alu instid0(VALU_DEP_1) | instskip(NEXT) | instid1(VALU_DEP_1)
	v_sub_nc_u32_e32 v50, v0, v1
                                        ; implicit-def: $vgpr0
                                        ; implicit-def: $vgpr1_vgpr2
	v_add_nc_u32_e32 v54, 0x6c, v50
; %bb.11:
	s_wait_alu 0xfffe
	s_or_saveexec_b32 s1, s1
	v_cndmask_b32_e64 v60, 0, 0x439, s0
	s_add_nc_u64 s[2:3], s[14:15], s[10:11]
	s_delay_alu instid0(VALU_DEP_1)
	v_lshlrev_b32_e32 v55, 4, v60
	s_wait_alu 0xfffe
	s_xor_b32 exec_lo, exec_lo, s1
	s_cbranch_execz .LBB0_13
; %bb.12:
	s_add_nc_u64 s[10:11], s[12:13], s[10:11]
	v_lshlrev_b64_e32 v[1:2], 4, v[1:2]
	s_load_b64 s[10:11], s[10:11], 0x0
	s_wait_kmcnt 0x0
	v_mul_lo_u32 v6, s11, v52
	v_mul_lo_u32 v7, s10, v53
	v_mad_co_u64_u32 v[4:5], null, s10, v52, 0
	s_delay_alu instid0(VALU_DEP_1) | instskip(SKIP_1) | instid1(VALU_DEP_2)
	v_add3_u32 v5, v5, v7, v6
	v_mul_u32_u24_e32 v6, 0x6c, v3
	v_lshlrev_b64_e32 v[3:4], 4, v[4:5]
	s_delay_alu instid0(VALU_DEP_2) | instskip(NEXT) | instid1(VALU_DEP_1)
	v_sub_nc_u32_e32 v50, v0, v6
	v_lshlrev_b32_e32 v40, 4, v50
	s_delay_alu instid0(VALU_DEP_3) | instskip(SKIP_1) | instid1(VALU_DEP_4)
	v_add_co_u32 v0, s0, s4, v3
	s_wait_alu 0xf1ff
	v_add_co_ci_u32_e64 v3, s0, s5, v4, s0
	v_add_nc_u32_e32 v54, 0x6c, v50
	s_delay_alu instid0(VALU_DEP_3) | instskip(SKIP_1) | instid1(VALU_DEP_3)
	v_add_co_u32 v0, s0, v0, v1
	s_wait_alu 0xf1ff
	v_add_co_ci_u32_e64 v1, s0, v3, v2, s0
	s_delay_alu instid0(VALU_DEP_2) | instskip(SKIP_1) | instid1(VALU_DEP_2)
	v_add_co_u32 v36, s0, v0, v40
	s_wait_alu 0xf1ff
	v_add_co_ci_u32_e64 v37, s0, 0, v1, s0
	s_clause 0x9
	global_load_b128 v[0:3], v[36:37], off
	global_load_b128 v[4:7], v[36:37], off offset:1728
	global_load_b128 v[8:11], v[36:37], off offset:3456
	;; [unrolled: 1-line block ×9, first 2 shown]
	v_add3_u32 v40, 0, v55, v40
	s_wait_loadcnt 0x9
	ds_store_b128 v40, v[0:3]
	s_wait_loadcnt 0x8
	ds_store_b128 v40, v[4:7] offset:1728
	s_wait_loadcnt 0x7
	ds_store_b128 v40, v[8:11] offset:3456
	;; [unrolled: 2-line block ×9, first 2 shown]
.LBB0_13:
	s_or_b32 exec_lo, exec_lo, s1
	v_lshlrev_b32_e32 v51, 4, v50
	s_load_b64 s[2:3], s[2:3], 0x0
	global_wb scope:SCOPE_SE
	s_wait_dscnt 0x0
	s_wait_kmcnt 0x0
	s_barrier_signal -1
	s_barrier_wait -1
	v_add_nc_u32_e32 v56, 0, v51
	global_inv scope:SCOPE_SE
	s_mov_b32 s0, 0xe8584caa
	s_mov_b32 s1, 0xbfebb67a
	;; [unrolled: 1-line block ×3, first 2 shown]
	v_add_nc_u32_e32 v59, v56, v55
	s_wait_alu 0xfffe
	s_mov_b32 s4, s0
	v_add_nc_u32_e32 v57, 0, v55
	v_mad_u32_u24 v56, 0x50, v50, v56
	ds_load_b128 v[0:3], v59 offset:14400
	ds_load_b128 v[4:7], v59 offset:8640
	;; [unrolled: 1-line block ×6, first 2 shown]
	v_add_nc_u32_e32 v58, v57, v51
	s_wait_dscnt 0x4
	v_add_f64_e32 v[20:21], v[6:7], v[2:3]
	v_add_f64_e32 v[28:29], v[4:5], v[0:1]
	s_wait_dscnt 0x2
	v_add_f64_e32 v[22:23], v[10:11], v[14:15]
	v_add_f64_e64 v[30:31], v[4:5], -v[0:1]
	v_add_f64_e32 v[46:47], v[8:9], v[12:13]
	v_add_f64_e64 v[61:62], v[8:9], -v[12:13]
	v_add_f64_e64 v[69:70], v[6:7], -v[2:3]
	;; [unrolled: 1-line block ×3, first 2 shown]
	s_wait_dscnt 0x1
	v_add_f64_e32 v[4:5], v[32:33], v[4:5]
	v_add_f64_e32 v[6:7], v[34:35], v[6:7]
	v_fma_f64 v[44:45], v[20:21], -0.5, v[34:35]
	v_fma_f64 v[71:72], v[28:29], -0.5, v[32:33]
	s_wait_dscnt 0x0
	v_fma_f64 v[63:64], v[22:23], -0.5, v[18:19]
	ds_load_b128 v[36:39], v59 offset:11520
	ds_load_b128 v[40:43], v59 offset:5760
	;; [unrolled: 1-line block ×4, first 2 shown]
	v_fma_f64 v[83:84], v[46:47], -0.5, v[16:17]
	v_add_f64_e32 v[0:1], v[4:5], v[0:1]
	v_add_f64_e32 v[2:3], v[6:7], v[2:3]
	s_wait_dscnt 0x2
	v_add_f64_e32 v[65:66], v[40:41], v[36:37]
	v_add_f64_e32 v[67:68], v[42:43], v[38:39]
	s_wait_dscnt 0x0
	v_add_f64_e32 v[77:78], v[24:25], v[20:21]
	v_add_f64_e32 v[79:80], v[26:27], v[22:23]
	v_add_f64_e64 v[87:88], v[42:43], -v[38:39]
	v_add_f64_e64 v[34:35], v[26:27], -v[22:23]
	;; [unrolled: 1-line block ×3, first 2 shown]
	s_wait_alu 0xfffe
	v_fma_f64 v[73:74], v[30:31], s[4:5], v[44:45]
	v_fma_f64 v[75:76], v[30:31], s[0:1], v[44:45]
	;; [unrolled: 1-line block ×4, first 2 shown]
	ds_load_b128 v[44:47], v58
	ds_load_b128 v[28:31], v59 offset:1728
	global_wb scope:SCOPE_SE
	s_wait_dscnt 0x0
	s_barrier_signal -1
	s_barrier_wait -1
	global_inv scope:SCOPE_SE
	v_add_f64_e32 v[63:64], v[44:45], v[40:41]
	v_add_f64_e32 v[42:43], v[46:47], v[42:43]
	v_add_f64_e64 v[40:41], v[40:41], -v[36:37]
	v_fma_f64 v[32:33], v[65:66], -0.5, v[44:45]
	v_fma_f64 v[44:45], v[67:68], -0.5, v[46:47]
	v_fma_f64 v[46:47], v[69:70], s[0:1], v[71:72]
	v_fma_f64 v[65:66], v[69:70], s[4:5], v[71:72]
	v_mul_f64_e32 v[67:68], s[0:1], v[73:74]
	v_mul_f64_e32 v[69:70], s[0:1], v[75:76]
	v_mul_f64_e32 v[71:72], 0.5, v[73:74]
	v_mul_f64_e32 v[73:74], -0.5, v[75:76]
	v_fma_f64 v[75:76], v[77:78], -0.5, v[28:29]
	v_fma_f64 v[77:78], v[79:80], -0.5, v[30:31]
	v_fma_f64 v[79:80], v[81:82], s[0:1], v[83:84]
	v_fma_f64 v[81:82], v[81:82], s[4:5], v[83:84]
	v_mul_f64_e32 v[83:84], s[0:1], v[85:86]
	v_mul_f64_e32 v[91:92], s[0:1], v[61:62]
	v_mul_f64_e32 v[85:86], 0.5, v[85:86]
	v_mul_f64_e32 v[61:62], -0.5, v[61:62]
	v_add_f64_e32 v[93:94], v[63:64], v[36:37]
	v_add_f64_e32 v[95:96], v[42:43], v[38:39]
	v_fma_f64 v[4:5], v[87:88], s[0:1], v[32:33]
	v_fma_f64 v[6:7], v[87:88], s[4:5], v[32:33]
	;; [unrolled: 1-line block ×4, first 2 shown]
	v_fma_f64 v[99:100], v[46:47], 0.5, v[67:68]
	v_fma_f64 v[101:102], v[65:66], -0.5, v[69:70]
	v_fma_f64 v[103:104], v[46:47], s[4:5], v[71:72]
	v_fma_f64 v[105:106], v[65:66], s[4:5], v[73:74]
	;; [unrolled: 1-line block ×6, first 2 shown]
	v_fma_f64 v[34:35], v[79:80], 0.5, v[83:84]
	v_fma_f64 v[38:39], v[81:82], -0.5, v[91:92]
	v_fma_f64 v[44:45], v[79:80], s[4:5], v[85:86]
	v_fma_f64 v[46:47], v[81:82], s[4:5], v[61:62]
	v_cmp_gt_u32_e64 s0, 0x48, v50
	v_add_nc_u32_e32 v85, v56, v55
	v_add_f64_e32 v[61:62], v[93:94], v[0:1]
	v_add_f64_e32 v[63:64], v[95:96], v[2:3]
	v_add_f64_e64 v[65:66], v[93:94], -v[0:1]
	v_add_f64_e64 v[67:68], v[95:96], -v[2:3]
	v_add_f64_e32 v[69:70], v[4:5], v[99:100]
	v_add_f64_e32 v[73:74], v[6:7], v[101:102]
	v_add_f64_e64 v[77:78], v[4:5], -v[99:100]
	v_add_f64_e64 v[81:82], v[6:7], -v[101:102]
	;; [unrolled: 4-line block ×3, first 2 shown]
	v_add_f64_e64 v[0:1], v[32:33], -v[34:35]
	v_add_f64_e64 v[4:5], v[36:37], -v[38:39]
	;; [unrolled: 1-line block ×4, first 2 shown]
	ds_store_b128 v85, v[61:64]
	ds_store_b128 v85, v[69:72] offset:16
	ds_store_b128 v85, v[73:76] offset:32
	;; [unrolled: 1-line block ×5, first 2 shown]
	s_and_saveexec_b32 s1, s0
	s_cbranch_execz .LBB0_15
; %bb.14:
	v_add_f64_e32 v[26:27], v[30:31], v[26:27]
	v_add_f64_e32 v[10:11], v[18:19], v[10:11]
	;; [unrolled: 1-line block ×4, first 2 shown]
	s_delay_alu instid0(VALU_DEP_4) | instskip(NEXT) | instid1(VALU_DEP_4)
	v_add_f64_e32 v[22:23], v[26:27], v[22:23]
	v_add_f64_e32 v[24:25], v[10:11], v[14:15]
	s_delay_alu instid0(VALU_DEP_4) | instskip(NEXT) | instid1(VALU_DEP_4)
	v_add_f64_e32 v[20:21], v[18:19], v[20:21]
	v_add_f64_e32 v[26:27], v[8:9], v[12:13]
	;; [unrolled: 1-line block ×7, first 2 shown]
	v_add_f64_e64 v[22:23], v[22:23], -v[24:25]
	v_add_f64_e32 v[16:17], v[20:21], v[26:27]
	v_add_f64_e64 v[20:21], v[20:21], -v[26:27]
	v_mul_i32_i24_e32 v24, 6, v54
	s_delay_alu instid0(VALU_DEP_1) | instskip(NEXT) | instid1(VALU_DEP_1)
	v_lshlrev_b32_e32 v24, 4, v24
	v_add3_u32 v24, 0, v24, v55
	ds_store_b128 v24, v[16:19]
	ds_store_b128 v24, v[12:15] offset:16
	ds_store_b128 v24, v[8:11] offset:32
	;; [unrolled: 1-line block ×5, first 2 shown]
.LBB0_15:
	s_wait_alu 0xfffe
	s_or_b32 exec_lo, exec_lo, s1
	v_and_b32_e32 v8, 0xff, v50
	global_wb scope:SCOPE_SE
	s_wait_dscnt 0x0
	s_barrier_signal -1
	s_barrier_wait -1
	global_inv scope:SCOPE_SE
	v_mul_lo_u16 v8, 0xab, v8
	v_mad_i32_i24 v62, 0xffffffb0, v50, v56
	v_lshlrev_b32_e32 v56, 4, v54
	s_mov_b32 s12, 0x134454ff
	s_mov_b32 s13, 0xbfee6f0e
	v_lshrrev_b16 v20, 10, v8
	v_add_nc_u32_e32 v61, v62, v55
	v_add3_u32 v63, 0, v56, v55
	s_mov_b32 s5, 0x3fee6f0e
	s_mov_b32 s4, s12
	v_mul_lo_u16 v8, v20, 6
	s_mov_b32 s16, 0x4755a5e
	s_mov_b32 s17, 0xbfe2cf23
	;; [unrolled: 1-line block ×4, first 2 shown]
	v_sub_nc_u16 v8, v50, v8
	s_mov_b32 s14, 0x372fe950
	s_mov_b32 s15, 0x3fd3c6ef
	;; [unrolled: 1-line block ×4, first 2 shown]
	v_and_b32_e32 v21, 0xff, v8
	s_mov_b32 s21, 0xbfd3c6ef
	s_mov_b32 s20, s14
	;; [unrolled: 1-line block ×4, first 2 shown]
	v_mul_u32_u24_e32 v8, 9, v21
	v_and_b32_e32 v20, 0xffff, v20
	v_lshlrev_b32_e32 v21, 4, v21
	s_delay_alu instid0(VALU_DEP_3) | instskip(NEXT) | instid1(VALU_DEP_3)
	v_lshlrev_b32_e32 v42, 4, v8
	v_mad_u32_u24 v20, 0x3c0, v20, 0
	s_clause 0x8
	global_load_b128 v[8:11], v42, s[8:9] offset:64
	global_load_b128 v[12:15], v42, s[8:9] offset:96
	;; [unrolled: 1-line block ×4, first 2 shown]
	global_load_b128 v[26:29], v42, s[8:9]
	global_load_b128 v[30:33], v42, s[8:9] offset:16
	global_load_b128 v[34:37], v42, s[8:9] offset:48
	;; [unrolled: 1-line block ×4, first 2 shown]
	ds_load_b128 v[64:67], v59 offset:8640
	ds_load_b128 v[68:71], v61 offset:12096
	ds_load_b128 v[72:75], v61 offset:5184
	ds_load_b128 v[76:79], v61 offset:15552
	ds_load_b128 v[80:83], v58
	ds_load_b128 v[84:87], v63
	ds_load_b128 v[88:91], v61 offset:3456
	v_add3_u32 v20, v20, v21, v55
	s_wait_loadcnt_dscnt 0x806
	v_mul_f64_e32 v[46:47], v[64:65], v[10:11]
	s_wait_loadcnt_dscnt 0x705
	v_mul_f64_e32 v[92:93], v[68:69], v[14:15]
	;; [unrolled: 2-line block ×4, first 2 shown]
	v_mul_f64_e32 v[10:11], v[66:67], v[10:11]
	v_mul_f64_e32 v[18:19], v[74:75], v[18:19]
	;; [unrolled: 1-line block ×4, first 2 shown]
	s_wait_loadcnt_dscnt 0x401
	v_mul_f64_e32 v[104:105], v[84:85], v[28:29]
	v_mul_f64_e32 v[28:29], v[86:87], v[28:29]
	v_fma_f64 v[46:47], v[66:67], v[8:9], -v[46:47]
	v_fma_f64 v[66:67], v[70:71], v[12:13], -v[92:93]
	;; [unrolled: 1-line block ×4, first 2 shown]
	ds_load_b128 v[92:95], v61 offset:6912
	ds_load_b128 v[96:99], v59 offset:10368
	;; [unrolled: 1-line block ×3, first 2 shown]
	s_wait_loadcnt_dscnt 0x303
	v_mul_f64_e32 v[78:79], v[90:91], v[32:33]
	v_mul_f64_e32 v[32:33], v[88:89], v[32:33]
	v_fma_f64 v[8:9], v[64:65], v[8:9], v[10:11]
	v_fma_f64 v[16:17], v[72:73], v[16:17], v[18:19]
	v_fma_f64 v[12:13], v[68:69], v[12:13], v[14:15]
	v_fma_f64 v[14:15], v[76:77], v[22:23], v[24:25]
	v_fma_f64 v[18:19], v[86:87], v[26:27], -v[104:105]
	v_fma_f64 v[26:27], v[84:85], v[26:27], v[28:29]
	global_wb scope:SCOPE_SE
	s_wait_loadcnt_dscnt 0x0
	s_barrier_signal -1
	s_barrier_wait -1
	global_inv scope:SCOPE_SE
	v_mul_f64_e32 v[106:107], v[94:95], v[36:37]
	v_mul_f64_e32 v[36:37], v[92:93], v[36:37]
	;; [unrolled: 1-line block ×6, first 2 shown]
	v_add_f64_e32 v[22:23], v[46:47], v[66:67]
	v_add_f64_e64 v[86:87], v[70:71], -v[46:47]
	v_add_f64_e32 v[24:25], v[70:71], v[74:75]
	v_fma_f64 v[64:65], v[88:89], v[30:31], v[78:79]
	v_fma_f64 v[30:31], v[90:91], v[30:31], -v[32:33]
	v_add_f64_e64 v[88:89], v[74:75], -v[66:67]
	v_add_f64_e64 v[90:91], v[46:47], -v[70:71]
	v_add_f64_e32 v[28:29], v[8:9], v[12:13]
	v_add_f64_e64 v[68:69], v[8:9], -v[12:13]
	v_add_f64_e64 v[110:111], v[8:9], -v[16:17]
	;; [unrolled: 1-line block ×3, first 2 shown]
	v_fma_f64 v[32:33], v[92:93], v[34:35], v[106:107]
	v_fma_f64 v[34:35], v[94:95], v[34:35], -v[36:37]
	v_fma_f64 v[36:37], v[96:97], v[38:39], v[108:109]
	v_fma_f64 v[10:11], v[100:101], v[42:43], v[10:11]
	v_fma_f64 v[38:39], v[98:99], v[38:39], -v[40:41]
	v_fma_f64 v[40:41], v[102:103], v[42:43], -v[44:45]
	v_add_f64_e64 v[44:45], v[16:17], -v[14:15]
	v_add_f64_e32 v[42:43], v[16:17], v[14:15]
	v_add_f64_e64 v[92:93], v[66:67], -v[74:75]
	v_add_f64_e64 v[94:95], v[70:71], -v[74:75]
	;; [unrolled: 1-line block ×4, first 2 shown]
	v_add_f64_e32 v[16:17], v[26:27], v[16:17]
	v_add_f64_e64 v[108:109], v[14:15], -v[12:13]
	v_fma_f64 v[22:23], v[22:23], -0.5, v[18:19]
	v_fma_f64 v[24:25], v[24:25], -0.5, v[18:19]
	v_add_f64_e32 v[18:19], v[18:19], v[70:71]
	v_add_f64_e32 v[102:103], v[80:81], v[64:65]
	;; [unrolled: 1-line block ×3, first 2 shown]
	v_fma_f64 v[28:29], v[28:29], -0.5, v[26:27]
	v_add_f64_e64 v[116:117], v[30:31], -v[34:35]
	v_add_f64_e32 v[72:73], v[32:33], v[36:37]
	v_add_f64_e32 v[76:77], v[64:65], v[10:11]
	;; [unrolled: 1-line block ×4, first 2 shown]
	v_add_f64_e64 v[70:71], v[30:31], -v[40:41]
	v_fma_f64 v[42:43], v[42:43], -0.5, v[26:27]
	v_add_f64_e64 v[26:27], v[34:35], -v[38:39]
	v_add_f64_e64 v[114:115], v[32:33], -v[36:37]
	;; [unrolled: 1-line block ×4, first 2 shown]
	v_add_f64_e32 v[8:9], v[16:17], v[8:9]
	v_add_f64_e32 v[106:107], v[106:107], v[108:109]
	v_add_f64_e64 v[120:121], v[38:39], -v[40:41]
	v_add_f64_e32 v[108:109], v[110:111], v[112:113]
	s_wait_alu 0xfffe
	v_fma_f64 v[98:99], v[44:45], s[4:5], v[22:23]
	v_fma_f64 v[22:23], v[44:45], s[12:13], v[22:23]
	;; [unrolled: 1-line block ×4, first 2 shown]
	v_add_f64_e32 v[16:17], v[18:19], v[46:47]
	v_add_f64_e32 v[34:35], v[104:105], v[34:35]
	v_fma_f64 v[72:73], v[72:73], -0.5, v[80:81]
	v_fma_f64 v[76:77], v[76:77], -0.5, v[80:81]
	v_add_f64_e64 v[80:81], v[64:65], -v[10:11]
	v_fma_f64 v[78:79], v[78:79], -0.5, v[82:83]
	v_fma_f64 v[82:83], v[84:85], -0.5, v[82:83]
	v_add_f64_e32 v[84:85], v[86:87], v[88:89]
	v_add_f64_e32 v[86:87], v[90:91], v[92:93]
	v_fma_f64 v[88:89], v[94:95], s[12:13], v[28:29]
	v_fma_f64 v[90:91], v[96:97], s[4:5], v[42:43]
	;; [unrolled: 1-line block ×4, first 2 shown]
	v_add_f64_e32 v[8:9], v[8:9], v[12:13]
	v_add_f64_e32 v[30:31], v[30:31], v[120:121]
	v_fma_f64 v[92:93], v[68:69], s[10:11], v[98:99]
	v_fma_f64 v[22:23], v[68:69], s[16:17], v[22:23]
	v_fma_f64 v[98:99], v[44:45], s[10:11], v[100:101]
	v_fma_f64 v[24:25], v[44:45], s[16:17], v[24:25]
	v_add_f64_e64 v[44:45], v[64:65], -v[32:33]
	v_add_f64_e64 v[64:65], v[32:33], -v[64:65]
	v_add_f64_e32 v[32:33], v[102:103], v[32:33]
	v_add_f64_e64 v[68:69], v[10:11], -v[36:37]
	v_add_f64_e64 v[100:101], v[36:37], -v[10:11]
	v_add_f64_e32 v[34:35], v[34:35], v[38:39]
	v_add_f64_e32 v[12:13], v[16:17], v[66:67]
	v_fma_f64 v[18:19], v[70:71], s[12:13], v[72:73]
	v_fma_f64 v[46:47], v[70:71], s[4:5], v[72:73]
	;; [unrolled: 1-line block ×12, first 2 shown]
	v_add_f64_e32 v[8:9], v[8:9], v[14:15]
	v_fma_f64 v[92:93], v[84:85], s[14:15], v[92:93]
	v_fma_f64 v[22:23], v[84:85], s[14:15], v[22:23]
	v_fma_f64 v[94:95], v[86:87], s[14:15], v[98:99]
	v_fma_f64 v[24:25], v[86:87], s[14:15], v[24:25]
	v_add_f64_e32 v[32:33], v[32:33], v[36:37]
	v_add_f64_e32 v[44:45], v[44:45], v[68:69]
	;; [unrolled: 1-line block ×5, first 2 shown]
	v_fma_f64 v[16:17], v[26:27], s[16:17], v[18:19]
	v_fma_f64 v[18:19], v[26:27], s[10:11], v[46:47]
	;; [unrolled: 1-line block ×12, first 2 shown]
	v_mul_f64_e32 v[78:79], s[16:17], v[92:93]
	v_mul_f64_e32 v[86:87], s[18:19], v[92:93]
	;; [unrolled: 1-line block ×8, first 2 shown]
	v_add_f64_e32 v[10:11], v[32:33], v[10:11]
	v_add_f64_e32 v[32:33], v[34:35], v[40:41]
	v_fma_f64 v[14:15], v[44:45], s[14:15], v[16:17]
	v_fma_f64 v[18:19], v[44:45], s[14:15], v[18:19]
	v_fma_f64 v[16:17], v[64:65], s[14:15], v[26:27]
	v_fma_f64 v[34:35], v[64:65], s[14:15], v[36:37]
	v_fma_f64 v[38:39], v[68:69], s[14:15], v[38:39]
	v_fma_f64 v[68:69], v[68:69], s[14:15], v[46:47]
	v_fma_f64 v[74:75], v[30:31], s[14:15], v[66:67]
	v_fma_f64 v[70:71], v[30:31], s[14:15], v[70:71]
	v_fma_f64 v[36:37], v[72:73], s[18:19], v[78:79]
	v_fma_f64 v[72:73], v[72:73], s[10:11], v[86:87]
	v_fma_f64 v[78:79], v[76:77], s[14:15], v[80:81]
	v_fma_f64 v[76:77], v[76:77], s[4:5], v[88:89]
	v_fma_f64 v[80:81], v[42:43], s[20:21], v[82:83]
	v_fma_f64 v[82:83], v[28:29], s[22:23], v[84:85]
	v_fma_f64 v[84:85], v[42:43], s[4:5], v[24:25]
	v_fma_f64 v[86:87], v[28:29], s[10:11], v[22:23]
	v_add_f64_e32 v[22:23], v[10:11], v[8:9]
	v_add_f64_e32 v[24:25], v[32:33], v[12:13]
	v_add_f64_e64 v[28:29], v[32:33], -v[12:13]
	v_add_f64_e64 v[26:27], v[10:11], -v[8:9]
	v_add_f64_e32 v[30:31], v[14:15], v[36:37]
	v_add_f64_e32 v[32:33], v[38:39], v[72:73]
	;; [unrolled: 1-line block ×8, first 2 shown]
	v_add_f64_e64 v[8:9], v[14:15], -v[36:37]
	v_add_f64_e64 v[10:11], v[38:39], -v[72:73]
	;; [unrolled: 1-line block ×8, first 2 shown]
	ds_store_b128 v20, v[22:25]
	ds_store_b128 v20, v[30:33] offset:96
	ds_store_b128 v20, v[40:43] offset:192
	;; [unrolled: 1-line block ×9, first 2 shown]
	global_wb scope:SCOPE_SE
	s_wait_dscnt 0x0
	s_barrier_signal -1
	s_barrier_wait -1
	global_inv scope:SCOPE_SE
	ds_load_b128 v[20:23], v58
	ds_load_b128 v[24:27], v59 offset:2880
	ds_load_b128 v[28:31], v59 offset:5760
	;; [unrolled: 1-line block ×5, first 2 shown]
	s_and_saveexec_b32 s1, s0
	s_cbranch_execz .LBB0_17
; %bb.16:
	ds_load_b128 v[12:15], v59 offset:4608
	ds_load_b128 v[16:19], v59 offset:7488
	;; [unrolled: 1-line block ×4, first 2 shown]
	ds_load_b128 v[8:11], v63
	ds_load_b128 v[4:7], v59 offset:16128
.LBB0_17:
	s_wait_alu 0xfffe
	s_or_b32 exec_lo, exec_lo, s1
	v_dual_mov_b32 v65, 0 :: v_dual_and_b32 v56, 0xff, v54
	v_subrev_nc_u32_e32 v64, 60, v50
	v_cmp_gt_u32_e64 s1, 60, v50
	s_mov_b32 s4, 0xe8584caa
	s_delay_alu instid0(VALU_DEP_3)
	v_mul_lo_u16 v56, 0x89, v56
	s_mov_b32 s5, 0xbfebb67a
	s_mov_b32 s11, 0x3febb67a
	s_wait_alu 0xf1ff
	v_cndmask_b32_e64 v115, v64, v50, s1
	s_wait_alu 0xfffe
	s_mov_b32 s10, s4
	v_lshrrev_b16 v56, 13, v56
	s_delay_alu instid0(VALU_DEP_2) | instskip(NEXT) | instid1(VALU_DEP_2)
	v_mul_i32_i24_e32 v64, 5, v115
	v_mul_lo_u16 v66, v56, 60
	s_delay_alu instid0(VALU_DEP_1) | instskip(NEXT) | instid1(VALU_DEP_3)
	v_sub_nc_u16 v67, v54, v66
	v_lshlrev_b64_e32 v[65:66], 4, v[64:65]
	s_delay_alu instid0(VALU_DEP_2) | instskip(NEXT) | instid1(VALU_DEP_2)
	v_and_b32_e32 v64, 0xff, v67
	v_add_co_u32 v93, s1, s8, v65
	s_wait_alu 0xf1ff
	s_delay_alu instid0(VALU_DEP_3) | instskip(NEXT) | instid1(VALU_DEP_3)
	v_add_co_ci_u32_e64 v94, s1, s9, v66, s1
	v_mul_u32_u24_e32 v73, 5, v64
	v_cmp_lt_u32_e64 s1, 59, v50
	s_clause 0x1
	global_load_b128 v[65:68], v[93:94], off offset:896
	global_load_b128 v[69:72], v[93:94], off offset:928
	v_lshlrev_b32_e32 v101, 4, v73
	s_clause 0x7
	global_load_b128 v[73:76], v101, s[8:9] offset:896
	global_load_b128 v[77:80], v101, s[8:9] offset:928
	global_load_b128 v[81:84], v[93:94], off offset:864
	global_load_b128 v[85:88], v101, s[8:9] offset:864
	global_load_b128 v[89:92], v[93:94], off offset:880
	global_load_b128 v[93:96], v[93:94], off offset:912
	global_load_b128 v[97:100], v101, s[8:9] offset:880
	global_load_b128 v[101:104], v101, s[8:9] offset:912
	global_wb scope:SCOPE_SE
	s_wait_loadcnt_dscnt 0x0
	s_barrier_signal -1
	s_barrier_wait -1
	global_inv scope:SCOPE_SE
	v_mul_f64_e32 v[105:106], v[40:41], v[67:68]
	v_mul_f64_e32 v[107:108], v[44:45], v[71:72]
	;; [unrolled: 1-line block ×10, first 2 shown]
	v_fma_f64 v[42:43], v[42:43], v[65:66], -v[105:106]
	v_fma_f64 v[46:47], v[46:47], v[69:70], -v[107:108]
	v_mul_f64_e32 v[105:106], v[12:13], v[87:88]
	v_fma_f64 v[38:39], v[38:39], v[73:74], -v[109:110]
	v_fma_f64 v[6:7], v[6:7], v[77:78], -v[111:112]
	v_mul_f64_e32 v[107:108], v[30:31], v[91:92]
	v_mul_f64_e32 v[91:92], v[28:29], v[91:92]
	;; [unrolled: 1-line block ×5, first 2 shown]
	v_fma_f64 v[40:41], v[40:41], v[65:66], v[67:68]
	v_fma_f64 v[44:45], v[44:45], v[69:70], v[71:72]
	v_fma_f64 v[26:27], v[26:27], v[81:82], -v[113:114]
	v_mul_f64_e32 v[67:68], v[16:17], v[99:100]
	v_mul_f64_e32 v[69:70], v[2:3], v[103:104]
	;; [unrolled: 1-line block ×4, first 2 shown]
	v_fma_f64 v[36:37], v[36:37], v[73:74], v[75:76]
	v_fma_f64 v[4:5], v[4:5], v[77:78], v[79:80]
	;; [unrolled: 1-line block ×3, first 2 shown]
	v_add_f64_e32 v[65:66], v[42:43], v[46:47]
	v_fma_f64 v[14:15], v[14:15], v[85:86], -v[105:106]
	v_add_f64_e64 v[81:82], v[42:43], -v[46:47]
	v_add_f64_e32 v[73:74], v[38:39], v[6:7]
	v_fma_f64 v[28:29], v[28:29], v[89:90], v[107:108]
	v_fma_f64 v[30:31], v[30:31], v[89:90], -v[91:92]
	v_fma_f64 v[32:33], v[32:33], v[93:94], v[109:110]
	v_fma_f64 v[34:35], v[34:35], v[93:94], -v[95:96]
	v_fma_f64 v[16:17], v[16:17], v[97:98], v[111:112]
	v_add_f64_e32 v[75:76], v[40:41], v[44:45]
	v_add_f64_e64 v[77:78], v[40:41], -v[44:45]
	v_fma_f64 v[18:19], v[18:19], v[97:98], -v[67:68]
	v_fma_f64 v[0:1], v[0:1], v[101:102], v[69:70]
	v_fma_f64 v[2:3], v[2:3], v[101:102], -v[71:72]
	v_fma_f64 v[12:13], v[12:13], v[85:86], v[87:88]
	v_add_f64_e64 v[87:88], v[38:39], -v[6:7]
	v_add_f64_e32 v[67:68], v[36:37], v[4:5]
	v_add_f64_e64 v[69:70], v[36:37], -v[4:5]
	v_fma_f64 v[65:66], v[65:66], -0.5, v[26:27]
	v_add_f64_e32 v[26:27], v[26:27], v[42:43]
	v_add_f64_e32 v[38:39], v[14:15], v[38:39]
	v_fma_f64 v[71:72], v[73:74], -0.5, v[14:15]
	v_add_f64_e32 v[73:74], v[28:29], v[32:33]
	v_add_f64_e32 v[79:80], v[30:31], v[34:35]
	v_add_f64_e64 v[91:92], v[30:31], -v[34:35]
	v_add_f64_e32 v[30:31], v[22:23], v[30:31]
	v_fma_f64 v[75:76], v[75:76], -0.5, v[24:25]
	v_add_f64_e32 v[24:25], v[24:25], v[40:41]
	v_add_f64_e32 v[40:41], v[8:9], v[16:17]
	v_add_f64_e64 v[93:94], v[16:17], -v[0:1]
	v_add_f64_e32 v[85:86], v[18:19], v[2:3]
	v_add_f64_e64 v[42:43], v[18:19], -v[2:3]
	v_add_f64_e32 v[18:19], v[10:11], v[18:19]
	v_fma_f64 v[67:68], v[67:68], -0.5, v[12:13]
	v_add_f64_e32 v[36:37], v[12:13], v[36:37]
	s_wait_alu 0xfffe
	v_fma_f64 v[83:84], v[77:78], s[10:11], v[65:66]
	v_fma_f64 v[65:66], v[77:78], s[4:5], v[65:66]
	v_add_f64_e32 v[77:78], v[16:17], v[0:1]
	v_fma_f64 v[89:90], v[69:70], s[10:11], v[71:72]
	v_fma_f64 v[69:70], v[69:70], s[4:5], v[71:72]
	v_add_f64_e32 v[71:72], v[20:21], v[28:29]
	v_add_f64_e64 v[28:29], v[28:29], -v[32:33]
	v_fma_f64 v[20:21], v[73:74], -0.5, v[20:21]
	v_fma_f64 v[73:74], v[79:80], -0.5, v[22:23]
	v_add_f64_e32 v[97:98], v[30:31], v[34:35]
	v_fma_f64 v[79:80], v[81:82], s[4:5], v[75:76]
	v_fma_f64 v[75:76], v[81:82], s[10:11], v[75:76]
	v_add_f64_e32 v[44:45], v[24:25], v[44:45]
	v_add_f64_e32 v[46:47], v[26:27], v[46:47]
	v_fma_f64 v[10:11], v[85:86], -0.5, v[10:11]
	v_add_f64_e32 v[12:13], v[40:41], v[0:1]
	v_add_f64_e32 v[16:17], v[18:19], v[2:3]
	;; [unrolled: 1-line block ×4, first 2 shown]
	v_mul_f64_e32 v[81:82], s[4:5], v[83:84]
	v_mul_f64_e32 v[95:96], s[4:5], v[65:66]
	v_fma_f64 v[8:9], v[77:78], -0.5, v[8:9]
	v_fma_f64 v[77:78], v[87:88], s[4:5], v[67:68]
	v_fma_f64 v[67:68], v[87:88], s[10:11], v[67:68]
	v_mul_f64_e32 v[85:86], s[4:5], v[89:90]
	v_mul_f64_e32 v[87:88], s[4:5], v[69:70]
	v_mul_f64_e32 v[89:90], 0.5, v[89:90]
	v_mul_f64_e32 v[69:70], -0.5, v[69:70]
	v_mul_f64_e32 v[83:84], 0.5, v[83:84]
	v_mul_f64_e32 v[65:66], -0.5, v[65:66]
	v_add_f64_e32 v[71:72], v[71:72], v[32:33]
	v_fma_f64 v[4:5], v[91:92], s[4:5], v[20:21]
	v_fma_f64 v[6:7], v[91:92], s[10:11], v[20:21]
	;; [unrolled: 1-line block ×6, first 2 shown]
	v_add_f64_e32 v[38:39], v[97:98], v[46:47]
	v_add_f64_e64 v[0:1], v[12:13], -v[14:15]
	v_add_f64_e64 v[2:3], v[16:17], -v[22:23]
	v_fma_f64 v[73:74], v[79:80], 0.5, v[81:82]
	v_fma_f64 v[81:82], v[75:76], -0.5, v[95:96]
	v_fma_f64 v[18:19], v[42:43], s[4:5], v[8:9]
	v_fma_f64 v[20:21], v[42:43], s[10:11], v[8:9]
	v_add_f64_e64 v[42:43], v[97:98], -v[46:47]
	v_fma_f64 v[24:25], v[77:78], 0.5, v[85:86]
	v_fma_f64 v[26:27], v[67:68], -0.5, v[87:88]
	v_fma_f64 v[32:33], v[77:78], s[10:11], v[89:90]
	v_fma_f64 v[34:35], v[67:68], s[10:11], v[69:70]
	;; [unrolled: 1-line block ×4, first 2 shown]
	v_add_f64_e32 v[36:37], v[71:72], v[44:45]
	v_add_f64_e64 v[40:41], v[71:72], -v[44:45]
	s_wait_alu 0xf1ff
	v_cndmask_b32_e64 v77, 0, 0x1680, s1
	v_lshlrev_b32_e32 v78, 4, v115
	s_delay_alu instid0(VALU_DEP_2) | instskip(NEXT) | instid1(VALU_DEP_1)
	v_add_nc_u32_e32 v77, 0, v77
	v_add3_u32 v77, v77, v78, v55
	v_add_f64_e32 v[44:45], v[4:5], v[73:74]
	v_add_f64_e32 v[65:66], v[6:7], v[81:82]
	v_add_f64_e64 v[69:70], v[4:5], -v[73:74]
	v_add_f64_e64 v[73:74], v[6:7], -v[81:82]
	;; [unrolled: 1-line block ×6, first 2 shown]
	v_add_f64_e32 v[46:47], v[91:92], v[79:80]
	v_add_f64_e32 v[67:68], v[99:100], v[75:76]
	v_add_f64_e64 v[71:72], v[91:92], -v[79:80]
	v_add_f64_e64 v[75:76], v[99:100], -v[75:76]
	ds_store_b128 v77, v[36:39]
	ds_store_b128 v77, v[44:47] offset:960
	ds_store_b128 v77, v[65:68] offset:1920
	;; [unrolled: 1-line block ×5, first 2 shown]
	s_and_saveexec_b32 s1, s0
	s_cbranch_execz .LBB0_19
; %bb.18:
	v_add_f64_e32 v[16:17], v[16:17], v[22:23]
	v_add_f64_e32 v[14:15], v[12:13], v[14:15]
	;; [unrolled: 1-line block ×6, first 2 shown]
	v_and_b32_e32 v12, 0xffff, v56
	v_lshlrev_b32_e32 v13, 4, v64
	s_delay_alu instid0(VALU_DEP_2) | instskip(NEXT) | instid1(VALU_DEP_1)
	v_mad_u32_u24 v12, 0x1680, v12, 0
	v_add3_u32 v12, v12, v13, v55
	ds_store_b128 v12, v[14:17]
	ds_store_b128 v12, v[32:35] offset:960
	ds_store_b128 v12, v[28:31] offset:1920
	;; [unrolled: 1-line block ×5, first 2 shown]
.LBB0_19:
	s_wait_alu 0xfffe
	s_or_b32 exec_lo, exec_lo, s1
	global_wb scope:SCOPE_SE
	s_wait_dscnt 0x0
	s_barrier_signal -1
	s_barrier_wait -1
	global_inv scope:SCOPE_SE
	ds_load_b128 v[16:19], v58
	ds_load_b128 v[32:35], v59 offset:5760
	ds_load_b128 v[36:39], v59 offset:11520
	ds_load_b128 v[24:27], v59 offset:13248
	ds_load_b128 v[12:15], v61 offset:3456
	ds_load_b128 v[44:47], v59 offset:7488
	ds_load_b128 v[28:31], v59 offset:9216
	ds_load_b128 v[20:23], v63
	ds_load_b128 v[40:43], v59 offset:14976
	v_cmp_gt_u32_e64 s0, 36, v50
	s_delay_alu instid0(VALU_DEP_1)
	s_and_saveexec_b32 s1, s0
	s_cbranch_execz .LBB0_21
; %bb.20:
	ds_load_b128 v[0:3], v61 offset:5184
	ds_load_b128 v[4:7], v59 offset:10944
	;; [unrolled: 1-line block ×3, first 2 shown]
.LBB0_21:
	s_wait_alu 0xfffe
	s_or_b32 exec_lo, exec_lo, s1
	v_dual_mov_b32 v56, 0 :: v_dual_lshlrev_b32 v55, 1, v50
	v_lshlrev_b32_e32 v66, 1, v54
	s_mov_b32 s10, s4
	s_delay_alu instid0(VALU_DEP_2) | instskip(NEXT) | instid1(VALU_DEP_3)
	v_mov_b32_e32 v67, v56
	v_lshlrev_b64_e32 v[64:65], 4, v[55:56]
	v_add_nc_u32_e32 v55, 0x1b0, v55
	s_delay_alu instid0(VALU_DEP_3) | instskip(NEXT) | instid1(VALU_DEP_3)
	v_lshlrev_b64_e32 v[72:73], 4, v[66:67]
	v_add_co_u32 v68, s1, s8, v64
	s_delay_alu instid0(VALU_DEP_3) | instskip(SKIP_2) | instid1(VALU_DEP_4)
	v_lshlrev_b64_e32 v[74:75], 4, v[55:56]
	s_wait_alu 0xf1ff
	v_add_co_ci_u32_e64 v69, s1, s9, v65, s1
	v_add_co_u32 v76, s1, s8, v72
	s_wait_alu 0xf1ff
	v_add_co_ci_u32_e64 v77, s1, s9, v73, s1
	s_clause 0x1
	global_load_b128 v[64:67], v[68:69], off offset:5680
	global_load_b128 v[68:71], v[68:69], off offset:5664
	v_add_co_u32 v84, s1, s8, v74
	s_wait_alu 0xf1ff
	v_add_co_ci_u32_e64 v85, s1, s9, v75, s1
	s_clause 0x3
	global_load_b128 v[72:75], v[76:77], off offset:5664
	global_load_b128 v[76:79], v[76:77], off offset:5680
	;; [unrolled: 1-line block ×4, first 2 shown]
	v_lshl_add_u32 v55, v60, 4, v62
	global_wb scope:SCOPE_SE
	s_wait_loadcnt_dscnt 0x0
	s_barrier_signal -1
	s_barrier_wait -1
	global_inv scope:SCOPE_SE
	v_add_nc_u32_e32 v60, 0x2000, v55
	v_add_nc_u32_e32 v55, 0x3800, v55
	v_mul_f64_e32 v[90:91], v[38:39], v[66:67]
	v_mul_f64_e32 v[88:89], v[34:35], v[70:71]
	;; [unrolled: 1-line block ×12, first 2 shown]
	v_fma_f64 v[36:37], v[36:37], v[64:65], v[90:91]
	v_fma_f64 v[32:33], v[32:33], v[68:69], v[88:89]
	v_fma_f64 v[34:35], v[34:35], v[68:69], -v[70:71]
	v_fma_f64 v[38:39], v[38:39], v[64:65], -v[66:67]
	v_fma_f64 v[44:45], v[44:45], v[72:73], v[92:93]
	v_fma_f64 v[24:25], v[24:25], v[76:77], v[94:95]
	v_fma_f64 v[46:47], v[46:47], v[72:73], -v[74:75]
	v_fma_f64 v[26:27], v[26:27], v[76:77], -v[78:79]
	;; [unrolled: 4-line block ×3, first 2 shown]
	v_add_f64_e32 v[64:65], v[32:33], v[36:37]
	v_add_f64_e32 v[76:77], v[16:17], v[32:33]
	;; [unrolled: 1-line block ×3, first 2 shown]
	v_add_f64_e64 v[78:79], v[34:35], -v[38:39]
	v_add_f64_e32 v[68:69], v[44:45], v[24:25]
	v_add_f64_e32 v[34:35], v[18:19], v[34:35]
	;; [unrolled: 1-line block ×7, first 2 shown]
	v_add_f64_e64 v[32:33], v[32:33], -v[36:37]
	v_add_f64_e64 v[46:47], v[46:47], -v[26:27]
	;; [unrolled: 1-line block ×3, first 2 shown]
	v_add_f64_e32 v[84:85], v[12:13], v[28:29]
	v_add_f64_e32 v[86:87], v[14:15], v[30:31]
	v_add_f64_e64 v[88:89], v[30:31], -v[42:43]
	v_add_f64_e64 v[90:91], v[28:29], -v[40:41]
	v_fma_f64 v[64:65], v[64:65], -0.5, v[16:17]
	v_fma_f64 v[66:67], v[66:67], -0.5, v[18:19]
	;; [unrolled: 1-line block ×4, first 2 shown]
	v_add_f64_e32 v[16:17], v[80:81], v[24:25]
	v_fma_f64 v[72:73], v[72:73], -0.5, v[12:13]
	v_add_f64_e32 v[12:13], v[76:77], v[36:37]
	v_fma_f64 v[74:75], v[74:75], -0.5, v[14:15]
	v_add_f64_e32 v[14:15], v[34:35], v[38:39]
	v_add_f64_e32 v[18:19], v[82:83], v[26:27]
	;; [unrolled: 1-line block ×4, first 2 shown]
	v_fma_f64 v[24:25], v[78:79], s[4:5], v[64:65]
	s_wait_alu 0xfffe
	v_fma_f64 v[28:29], v[78:79], s[10:11], v[64:65]
	v_fma_f64 v[26:27], v[32:33], s[10:11], v[66:67]
	;; [unrolled: 1-line block ×11, first 2 shown]
	ds_store_b128 v59, v[12:15]
	ds_store_b128 v59, v[24:27] offset:5760
	ds_store_b128 v59, v[28:31] offset:11520
	ds_store_b128 v63, v[16:19]
	ds_store_b128 v63, v[32:35] offset:5760
	ds_store_b128 v63, v[36:39] offset:11520
	;; [unrolled: 1-line block ×3, first 2 shown]
	ds_store_2addr_b64 v60, v[40:41], v[44:45] offset0:128 offset1:129
	ds_store_2addr_b64 v55, v[42:43], v[46:47] offset0:80 offset1:81
	s_and_saveexec_b32 s1, s0
	s_cbranch_execz .LBB0_23
; %bb.22:
	v_mov_b32_e32 v12, 0x144
	s_delay_alu instid0(VALU_DEP_1) | instskip(NEXT) | instid1(VALU_DEP_1)
	v_cndmask_b32_e64 v12, 0xffffffdc, v12, s0
	v_add_lshl_u32 v55, v50, v12, 1
	s_delay_alu instid0(VALU_DEP_1) | instskip(NEXT) | instid1(VALU_DEP_1)
	v_lshlrev_b64_e32 v[12:13], 4, v[55:56]
	v_add_co_u32 v16, s0, s8, v12
	s_wait_alu 0xf1ff
	s_delay_alu instid0(VALU_DEP_2)
	v_add_co_ci_u32_e64 v17, s0, s9, v13, s0
	s_clause 0x1
	global_load_b128 v[12:15], v[16:17], off offset:5664
	global_load_b128 v[16:19], v[16:17], off offset:5680
	s_wait_loadcnt 0x1
	v_mul_f64_e32 v[20:21], v[4:5], v[14:15]
	s_wait_loadcnt 0x0
	v_mul_f64_e32 v[22:23], v[8:9], v[18:19]
	v_mul_f64_e32 v[14:15], v[6:7], v[14:15]
	;; [unrolled: 1-line block ×3, first 2 shown]
	s_delay_alu instid0(VALU_DEP_4) | instskip(NEXT) | instid1(VALU_DEP_4)
	v_fma_f64 v[6:7], v[6:7], v[12:13], -v[20:21]
	v_fma_f64 v[10:11], v[10:11], v[16:17], -v[22:23]
	s_delay_alu instid0(VALU_DEP_4) | instskip(NEXT) | instid1(VALU_DEP_4)
	v_fma_f64 v[4:5], v[4:5], v[12:13], v[14:15]
	v_fma_f64 v[8:9], v[8:9], v[16:17], v[18:19]
	s_delay_alu instid0(VALU_DEP_4) | instskip(NEXT) | instid1(VALU_DEP_4)
	v_add_f64_e32 v[18:19], v[2:3], v[6:7]
	v_add_f64_e32 v[12:13], v[6:7], v[10:11]
	v_add_f64_e64 v[20:21], v[6:7], -v[10:11]
	s_delay_alu instid0(VALU_DEP_4)
	v_add_f64_e32 v[14:15], v[4:5], v[8:9]
	v_add_f64_e64 v[16:17], v[4:5], -v[8:9]
	v_add_f64_e32 v[4:5], v[0:1], v[4:5]
	v_fma_f64 v[12:13], v[12:13], -0.5, v[2:3]
	v_add_f64_e32 v[2:3], v[18:19], v[10:11]
	v_fma_f64 v[14:15], v[14:15], -0.5, v[0:1]
	s_delay_alu instid0(VALU_DEP_4) | instskip(NEXT) | instid1(VALU_DEP_4)
	v_add_f64_e32 v[0:1], v[4:5], v[8:9]
	v_fma_f64 v[10:11], v[16:17], s[10:11], v[12:13]
	v_fma_f64 v[6:7], v[16:17], s[4:5], v[12:13]
	s_delay_alu instid0(VALU_DEP_4)
	v_fma_f64 v[8:9], v[20:21], s[4:5], v[14:15]
	v_fma_f64 v[4:5], v[20:21], s[10:11], v[14:15]
	ds_store_b128 v59, v[0:3] offset:5184
	ds_store_b128 v59, v[8:11] offset:10944
	;; [unrolled: 1-line block ×3, first 2 shown]
.LBB0_23:
	s_wait_alu 0xfffe
	s_or_b32 exec_lo, exec_lo, s1
	global_wb scope:SCOPE_SE
	s_wait_dscnt 0x0
	s_barrier_signal -1
	s_barrier_wait -1
	global_inv scope:SCOPE_SE
	ds_load_b128 v[0:3], v58
	v_sub_nc_u32_e32 v10, v57, v51
	s_mov_b32 s1, exec_lo
                                        ; implicit-def: $vgpr6_vgpr7
                                        ; implicit-def: $vgpr4_vgpr5
                                        ; implicit-def: $vgpr8_vgpr9
	v_cmpx_ne_u32_e32 0, v50
	s_wait_alu 0xfffe
	s_xor_b32 s1, exec_lo, s1
	s_cbranch_execz .LBB0_25
; %bb.24:
	v_mov_b32_e32 v51, 0
	ds_load_b128 v[11:14], v10 offset:17280
	v_lshlrev_b64_e32 v[4:5], 4, v[50:51]
	s_delay_alu instid0(VALU_DEP_1) | instskip(SKIP_1) | instid1(VALU_DEP_2)
	v_add_co_u32 v4, s0, s8, v4
	s_wait_alu 0xf1ff
	v_add_co_ci_u32_e64 v5, s0, s9, v5, s0
	global_load_b128 v[6:9], v[4:5], off offset:17184
	s_wait_dscnt 0x0
	v_add_f64_e64 v[4:5], v[0:1], -v[11:12]
	v_add_f64_e32 v[15:16], v[2:3], v[13:14]
	v_add_f64_e64 v[2:3], v[2:3], -v[13:14]
	v_add_f64_e32 v[0:1], v[0:1], v[11:12]
	s_delay_alu instid0(VALU_DEP_4) | instskip(NEXT) | instid1(VALU_DEP_4)
	v_mul_f64_e32 v[4:5], 0.5, v[4:5]
	v_mul_f64_e32 v[13:14], 0.5, v[15:16]
	s_delay_alu instid0(VALU_DEP_4) | instskip(SKIP_1) | instid1(VALU_DEP_3)
	v_mul_f64_e32 v[2:3], 0.5, v[2:3]
	s_wait_loadcnt 0x0
	v_mul_f64_e32 v[11:12], v[4:5], v[8:9]
	s_delay_alu instid0(VALU_DEP_2) | instskip(SKIP_1) | instid1(VALU_DEP_3)
	v_fma_f64 v[15:16], v[13:14], v[8:9], v[2:3]
	v_fma_f64 v[2:3], v[13:14], v[8:9], -v[2:3]
	v_fma_f64 v[8:9], v[0:1], 0.5, v[11:12]
	v_fma_f64 v[0:1], v[0:1], 0.5, -v[11:12]
	s_delay_alu instid0(VALU_DEP_4) | instskip(NEXT) | instid1(VALU_DEP_4)
	v_fma_f64 v[11:12], -v[6:7], v[4:5], v[15:16]
	v_fma_f64 v[2:3], -v[6:7], v[4:5], v[2:3]
	ds_store_b64 v58, v[11:12] offset:8
	ds_store_b64 v10, v[2:3] offset:17288
	v_fma_f64 v[4:5], v[13:14], v[6:7], v[8:9]
	v_fma_f64 v[6:7], -v[13:14], v[6:7], v[0:1]
	v_dual_mov_b32 v8, v50 :: v_dual_mov_b32 v9, v51
                                        ; implicit-def: $vgpr0_vgpr1
.LBB0_25:
	s_wait_alu 0xfffe
	s_and_not1_saveexec_b32 s0, s1
	s_cbranch_execz .LBB0_27
; %bb.26:
	s_wait_dscnt 0x0
	v_add_f64_e32 v[4:5], v[0:1], v[2:3]
	v_add_f64_e64 v[6:7], v[0:1], -v[2:3]
	s_mov_b32 s4, 0
	v_mov_b32_e32 v8, 0
	s_wait_alu 0xfffe
	s_mov_b32 s5, s4
	s_wait_alu 0xfffe
	v_dual_mov_b32 v0, s4 :: v_dual_mov_b32 v1, s5
	v_mov_b32_e32 v9, 0
	ds_store_b64 v58, v[0:1] offset:8
	ds_store_b64 v10, v[0:1] offset:17288
	ds_load_b64 v[0:1], v57 offset:8648
	s_wait_dscnt 0x0
	v_xor_b32_e32 v1, 0x80000000, v1
	ds_store_b64 v57, v[0:1] offset:8648
.LBB0_27:
	s_wait_alu 0xfffe
	s_or_b32 exec_lo, exec_lo, s0
	v_mov_b32_e32 v55, 0
	v_lshlrev_b64_e32 v[8:9], 4, v[8:9]
	v_lshl_add_u32 v23, v54, 4, v57
	s_wait_dscnt 0x0
	s_delay_alu instid0(VALU_DEP_3) | instskip(NEXT) | instid1(VALU_DEP_1)
	v_lshlrev_b64_e32 v[0:1], 4, v[54:55]
	v_add_co_u32 v0, s0, s8, v0
	s_wait_alu 0xf1ff
	s_delay_alu instid0(VALU_DEP_2)
	v_add_co_ci_u32_e64 v1, s0, s9, v1, s0
	s_add_nc_u64 s[0:1], s[8:9], 0x4320
	s_wait_alu 0xfffe
	v_add_co_u32 v8, s0, s0, v8
	global_load_b128 v[0:3], v[0:1], off offset:17184
	s_wait_alu 0xf1ff
	v_add_co_ci_u32_e64 v9, s0, s1, v9, s0
	global_load_b128 v[11:14], v[8:9], off offset:3456
	ds_store_b64 v58, v[4:5]
	ds_store_b64 v10, v[6:7] offset:17280
	ds_load_b128 v[4:7], v23
	ds_load_b128 v[15:18], v10 offset:15552
	s_wait_dscnt 0x0
	v_add_f64_e64 v[19:20], v[4:5], -v[15:16]
	v_add_f64_e32 v[21:22], v[6:7], v[17:18]
	v_add_f64_e64 v[6:7], v[6:7], -v[17:18]
	v_add_f64_e32 v[4:5], v[4:5], v[15:16]
	s_delay_alu instid0(VALU_DEP_4) | instskip(NEXT) | instid1(VALU_DEP_4)
	v_mul_f64_e32 v[17:18], 0.5, v[19:20]
	v_mul_f64_e32 v[19:20], 0.5, v[21:22]
	s_delay_alu instid0(VALU_DEP_4) | instskip(SKIP_1) | instid1(VALU_DEP_3)
	v_mul_f64_e32 v[6:7], 0.5, v[6:7]
	s_wait_loadcnt 0x1
	v_mul_f64_e32 v[15:16], v[17:18], v[2:3]
	s_delay_alu instid0(VALU_DEP_2) | instskip(SKIP_1) | instid1(VALU_DEP_3)
	v_fma_f64 v[21:22], v[19:20], v[2:3], v[6:7]
	v_fma_f64 v[2:3], v[19:20], v[2:3], -v[6:7]
	v_fma_f64 v[6:7], v[4:5], 0.5, v[15:16]
	v_fma_f64 v[4:5], v[4:5], 0.5, -v[15:16]
	s_delay_alu instid0(VALU_DEP_4) | instskip(NEXT) | instid1(VALU_DEP_4)
	v_fma_f64 v[15:16], -v[0:1], v[17:18], v[21:22]
	v_fma_f64 v[2:3], -v[0:1], v[17:18], v[2:3]
	s_delay_alu instid0(VALU_DEP_4) | instskip(NEXT) | instid1(VALU_DEP_4)
	v_fma_f64 v[17:18], v[19:20], v[0:1], v[6:7]
	v_fma_f64 v[0:1], -v[19:20], v[0:1], v[4:5]
	global_load_b128 v[4:7], v[8:9], off offset:5184
	ds_store_2addr_b64 v23, v[17:18], v[15:16] offset1:1
	ds_store_b128 v10, v[0:3] offset:15552
	ds_load_b128 v[0:3], v58 offset:3456
	ds_load_b128 v[15:18], v10 offset:13824
	s_wait_dscnt 0x0
	v_add_f64_e64 v[19:20], v[0:1], -v[15:16]
	v_add_f64_e32 v[21:22], v[2:3], v[17:18]
	v_add_f64_e64 v[2:3], v[2:3], -v[17:18]
	v_add_f64_e32 v[0:1], v[0:1], v[15:16]
	s_delay_alu instid0(VALU_DEP_4) | instskip(NEXT) | instid1(VALU_DEP_4)
	v_mul_f64_e32 v[17:18], 0.5, v[19:20]
	v_mul_f64_e32 v[19:20], 0.5, v[21:22]
	s_delay_alu instid0(VALU_DEP_4) | instskip(SKIP_1) | instid1(VALU_DEP_3)
	v_mul_f64_e32 v[2:3], 0.5, v[2:3]
	s_wait_loadcnt 0x1
	v_mul_f64_e32 v[15:16], v[17:18], v[13:14]
	s_delay_alu instid0(VALU_DEP_2) | instskip(SKIP_1) | instid1(VALU_DEP_3)
	v_fma_f64 v[21:22], v[19:20], v[13:14], v[2:3]
	v_fma_f64 v[2:3], v[19:20], v[13:14], -v[2:3]
	v_fma_f64 v[13:14], v[0:1], 0.5, v[15:16]
	v_fma_f64 v[0:1], v[0:1], 0.5, -v[15:16]
	s_delay_alu instid0(VALU_DEP_4) | instskip(NEXT) | instid1(VALU_DEP_4)
	v_fma_f64 v[15:16], -v[11:12], v[17:18], v[21:22]
	v_fma_f64 v[2:3], -v[11:12], v[17:18], v[2:3]
	s_delay_alu instid0(VALU_DEP_4) | instskip(NEXT) | instid1(VALU_DEP_4)
	v_fma_f64 v[17:18], v[19:20], v[11:12], v[13:14]
	v_fma_f64 v[0:1], -v[19:20], v[11:12], v[0:1]
	global_load_b128 v[11:14], v[8:9], off offset:6912
	v_add_nc_u32_e32 v8, 0x800, v58
	ds_store_2addr_b64 v8, v[17:18], v[15:16] offset0:176 offset1:177
	ds_store_b128 v10, v[0:3] offset:13824
	ds_load_b128 v[0:3], v58 offset:5184
	ds_load_b128 v[15:18], v10 offset:12096
	s_wait_dscnt 0x0
	v_add_f64_e64 v[8:9], v[0:1], -v[15:16]
	v_add_f64_e32 v[19:20], v[2:3], v[17:18]
	v_add_f64_e64 v[2:3], v[2:3], -v[17:18]
	v_add_f64_e32 v[0:1], v[0:1], v[15:16]
	s_delay_alu instid0(VALU_DEP_4) | instskip(NEXT) | instid1(VALU_DEP_4)
	v_mul_f64_e32 v[8:9], 0.5, v[8:9]
	v_mul_f64_e32 v[17:18], 0.5, v[19:20]
	s_delay_alu instid0(VALU_DEP_4) | instskip(SKIP_1) | instid1(VALU_DEP_3)
	v_mul_f64_e32 v[2:3], 0.5, v[2:3]
	s_wait_loadcnt 0x1
	v_mul_f64_e32 v[15:16], v[8:9], v[6:7]
	s_delay_alu instid0(VALU_DEP_2) | instskip(SKIP_1) | instid1(VALU_DEP_3)
	v_fma_f64 v[19:20], v[17:18], v[6:7], v[2:3]
	v_fma_f64 v[2:3], v[17:18], v[6:7], -v[2:3]
	v_fma_f64 v[6:7], v[0:1], 0.5, v[15:16]
	v_fma_f64 v[0:1], v[0:1], 0.5, -v[15:16]
	s_delay_alu instid0(VALU_DEP_4) | instskip(NEXT) | instid1(VALU_DEP_4)
	v_fma_f64 v[15:16], -v[4:5], v[8:9], v[19:20]
	v_fma_f64 v[2:3], -v[4:5], v[8:9], v[2:3]
	s_delay_alu instid0(VALU_DEP_4) | instskip(NEXT) | instid1(VALU_DEP_4)
	v_fma_f64 v[6:7], v[17:18], v[4:5], v[6:7]
	v_fma_f64 v[0:1], -v[17:18], v[4:5], v[0:1]
	v_add_nc_u32_e32 v4, 0x1000, v58
	ds_store_2addr_b64 v4, v[6:7], v[15:16] offset0:136 offset1:137
	ds_store_b128 v10, v[0:3] offset:12096
	ds_load_b128 v[0:3], v58 offset:6912
	ds_load_b128 v[4:7], v10 offset:10368
	s_wait_dscnt 0x0
	v_add_f64_e64 v[8:9], v[0:1], -v[4:5]
	v_add_f64_e32 v[15:16], v[2:3], v[6:7]
	v_add_f64_e64 v[2:3], v[2:3], -v[6:7]
	v_add_f64_e32 v[0:1], v[0:1], v[4:5]
	s_delay_alu instid0(VALU_DEP_4) | instskip(NEXT) | instid1(VALU_DEP_4)
	v_mul_f64_e32 v[6:7], 0.5, v[8:9]
	v_mul_f64_e32 v[8:9], 0.5, v[15:16]
	s_delay_alu instid0(VALU_DEP_4) | instskip(SKIP_1) | instid1(VALU_DEP_3)
	v_mul_f64_e32 v[2:3], 0.5, v[2:3]
	s_wait_loadcnt 0x0
	v_mul_f64_e32 v[4:5], v[6:7], v[13:14]
	s_delay_alu instid0(VALU_DEP_2) | instskip(SKIP_1) | instid1(VALU_DEP_3)
	v_fma_f64 v[15:16], v[8:9], v[13:14], v[2:3]
	v_fma_f64 v[2:3], v[8:9], v[13:14], -v[2:3]
	v_fma_f64 v[13:14], v[0:1], 0.5, v[4:5]
	v_fma_f64 v[0:1], v[0:1], 0.5, -v[4:5]
	s_delay_alu instid0(VALU_DEP_4) | instskip(NEXT) | instid1(VALU_DEP_4)
	v_fma_f64 v[4:5], -v[11:12], v[6:7], v[15:16]
	v_fma_f64 v[2:3], -v[11:12], v[6:7], v[2:3]
	s_delay_alu instid0(VALU_DEP_4) | instskip(NEXT) | instid1(VALU_DEP_4)
	v_fma_f64 v[6:7], v[8:9], v[11:12], v[13:14]
	v_fma_f64 v[0:1], -v[8:9], v[11:12], v[0:1]
	v_add_nc_u32_e32 v8, 0x1800, v58
	ds_store_2addr_b64 v8, v[6:7], v[4:5] offset0:96 offset1:97
	ds_store_b128 v10, v[0:3] offset:10368
	global_wb scope:SCOPE_SE
	s_wait_dscnt 0x0
	s_barrier_signal -1
	s_barrier_wait -1
	global_inv scope:SCOPE_SE
	s_and_saveexec_b32 s0, vcc_lo
	s_cbranch_execz .LBB0_30
; %bb.28:
	v_mul_lo_u32 v2, s3, v52
	v_mul_lo_u32 v3, s2, v53
	v_mad_co_u64_u32 v[0:1], null, s2, v52, 0
	v_dual_mov_b32 v51, v55 :: v_dual_add_nc_u32 v54, 0x6c, v50
	v_lshlrev_b64_e32 v[11:12], 4, v[48:49]
	s_delay_alu instid0(VALU_DEP_2) | instskip(NEXT) | instid1(VALU_DEP_4)
	v_lshlrev_b64_e32 v[13:14], 4, v[50:51]
	v_add3_u32 v1, v1, v3, v2
	v_lshl_add_u32 v2, v50, 4, v57
	v_lshlrev_b64_e32 v[15:16], 4, v[54:55]
	ds_load_b128 v[3:6], v2
	ds_load_b128 v[7:10], v2 offset:1728
	v_lshlrev_b64_e32 v[0:1], 4, v[0:1]
	v_add_nc_u32_e32 v54, 0xd8, v50
	s_delay_alu instid0(VALU_DEP_2) | instskip(SKIP_1) | instid1(VALU_DEP_3)
	v_add_co_u32 v0, vcc_lo, s6, v0
	s_wait_alu 0xfffd
	v_add_co_ci_u32_e32 v1, vcc_lo, s7, v1, vcc_lo
	s_delay_alu instid0(VALU_DEP_2) | instskip(SKIP_1) | instid1(VALU_DEP_2)
	v_add_co_u32 v0, vcc_lo, v0, v11
	s_wait_alu 0xfffd
	v_add_co_ci_u32_e32 v1, vcc_lo, v1, v12, vcc_lo
	s_delay_alu instid0(VALU_DEP_2) | instskip(SKIP_1) | instid1(VALU_DEP_2)
	v_add_co_u32 v11, vcc_lo, v0, v13
	s_wait_alu 0xfffd
	v_add_co_ci_u32_e32 v12, vcc_lo, v1, v14, vcc_lo
	v_add_co_u32 v13, vcc_lo, v0, v15
	s_wait_alu 0xfffd
	v_add_co_ci_u32_e32 v14, vcc_lo, v1, v16, vcc_lo
	v_lshlrev_b64_e32 v[15:16], 4, v[54:55]
	v_add_nc_u32_e32 v54, 0x144, v50
	s_wait_dscnt 0x1
	global_store_b128 v[11:12], v[3:6], off
	s_wait_dscnt 0x0
	global_store_b128 v[13:14], v[7:10], off
	ds_load_b128 v[3:6], v2 offset:3456
	ds_load_b128 v[7:10], v2 offset:5184
	v_add_co_u32 v21, vcc_lo, v0, v15
	v_lshlrev_b64_e32 v[19:20], 4, v[54:55]
	v_add_nc_u32_e32 v54, 0x1b0, v50
	s_wait_alu 0xfffd
	v_add_co_ci_u32_e32 v22, vcc_lo, v1, v16, vcc_lo
	ds_load_b128 v[11:14], v2 offset:6912
	ds_load_b128 v[15:18], v2 offset:8640
	v_lshlrev_b64_e32 v[23:24], 4, v[54:55]
	v_add_nc_u32_e32 v54, 0x21c, v50
	v_add_co_u32 v19, vcc_lo, v0, v19
	s_wait_alu 0xfffd
	v_add_co_ci_u32_e32 v20, vcc_lo, v1, v20, vcc_lo
	s_delay_alu instid0(VALU_DEP_3) | instskip(SKIP_4) | instid1(VALU_DEP_3)
	v_lshlrev_b64_e32 v[25:26], 4, v[54:55]
	v_add_nc_u32_e32 v54, 0x288, v50
	v_add_co_u32 v23, vcc_lo, v0, v23
	s_wait_alu 0xfffd
	v_add_co_ci_u32_e32 v24, vcc_lo, v1, v24, vcc_lo
	v_lshlrev_b64_e32 v[27:28], 4, v[54:55]
	v_add_nc_u32_e32 v54, 0x2f4, v50
	v_add_co_u32 v25, vcc_lo, v0, v25
	s_wait_alu 0xfffd
	v_add_co_ci_u32_e32 v26, vcc_lo, v1, v26, vcc_lo
	s_wait_dscnt 0x3
	global_store_b128 v[21:22], v[3:6], off
	s_wait_dscnt 0x2
	global_store_b128 v[19:20], v[7:10], off
	s_wait_dscnt 0x1
	global_store_b128 v[23:24], v[11:14], off
	s_wait_dscnt 0x0
	global_store_b128 v[25:26], v[15:18], off
	v_lshlrev_b64_e32 v[21:22], 4, v[54:55]
	v_add_nc_u32_e32 v54, 0x360, v50
	ds_load_b128 v[3:6], v2 offset:10368
	ds_load_b128 v[7:10], v2 offset:12096
	;; [unrolled: 1-line block ×4, first 2 shown]
	v_add_co_u32 v19, vcc_lo, v0, v27
	s_wait_alu 0xfffd
	v_add_co_ci_u32_e32 v20, vcc_lo, v1, v28, vcc_lo
	v_lshlrev_b64_e32 v[23:24], 4, v[54:55]
	v_add_nc_u32_e32 v54, 0x3cc, v50
	v_add_co_u32 v21, vcc_lo, v0, v21
	s_wait_alu 0xfffd
	v_add_co_ci_u32_e32 v22, vcc_lo, v1, v22, vcc_lo
	s_delay_alu instid0(VALU_DEP_3) | instskip(SKIP_3) | instid1(VALU_DEP_3)
	v_lshlrev_b64_e32 v[25:26], 4, v[54:55]
	v_add_co_u32 v23, vcc_lo, v0, v23
	s_wait_alu 0xfffd
	v_add_co_ci_u32_e32 v24, vcc_lo, v1, v24, vcc_lo
	v_add_co_u32 v25, vcc_lo, v0, v25
	s_wait_alu 0xfffd
	v_add_co_ci_u32_e32 v26, vcc_lo, v1, v26, vcc_lo
	v_cmp_eq_u32_e32 vcc_lo, 0x6b, v50
	s_wait_dscnt 0x3
	global_store_b128 v[19:20], v[3:6], off
	s_wait_dscnt 0x2
	global_store_b128 v[21:22], v[7:10], off
	;; [unrolled: 2-line block ×4, first 2 shown]
	s_and_b32 exec_lo, exec_lo, vcc_lo
	s_cbranch_execz .LBB0_30
; %bb.29:
	ds_load_b128 v[2:5], v2 offset:15568
	s_wait_dscnt 0x0
	global_store_b128 v[0:1], v[2:5], off offset:17280
.LBB0_30:
	s_nop 0
	s_sendmsg sendmsg(MSG_DEALLOC_VGPRS)
	s_endpgm
	.section	.rodata,"a",@progbits
	.p2align	6, 0x0
	.amdhsa_kernel fft_rtc_back_len1080_factors_6_10_6_3_wgs_216_tpt_108_halfLds_dp_op_CI_CI_unitstride_sbrr_R2C_dirReg
		.amdhsa_group_segment_fixed_size 0
		.amdhsa_private_segment_fixed_size 0
		.amdhsa_kernarg_size 104
		.amdhsa_user_sgpr_count 2
		.amdhsa_user_sgpr_dispatch_ptr 0
		.amdhsa_user_sgpr_queue_ptr 0
		.amdhsa_user_sgpr_kernarg_segment_ptr 1
		.amdhsa_user_sgpr_dispatch_id 0
		.amdhsa_user_sgpr_private_segment_size 0
		.amdhsa_wavefront_size32 1
		.amdhsa_uses_dynamic_stack 0
		.amdhsa_enable_private_segment 0
		.amdhsa_system_sgpr_workgroup_id_x 1
		.amdhsa_system_sgpr_workgroup_id_y 0
		.amdhsa_system_sgpr_workgroup_id_z 0
		.amdhsa_system_sgpr_workgroup_info 0
		.amdhsa_system_vgpr_workitem_id 0
		.amdhsa_next_free_vgpr 122
		.amdhsa_next_free_sgpr 39
		.amdhsa_reserve_vcc 1
		.amdhsa_float_round_mode_32 0
		.amdhsa_float_round_mode_16_64 0
		.amdhsa_float_denorm_mode_32 3
		.amdhsa_float_denorm_mode_16_64 3
		.amdhsa_fp16_overflow 0
		.amdhsa_workgroup_processor_mode 1
		.amdhsa_memory_ordered 1
		.amdhsa_forward_progress 0
		.amdhsa_round_robin_scheduling 0
		.amdhsa_exception_fp_ieee_invalid_op 0
		.amdhsa_exception_fp_denorm_src 0
		.amdhsa_exception_fp_ieee_div_zero 0
		.amdhsa_exception_fp_ieee_overflow 0
		.amdhsa_exception_fp_ieee_underflow 0
		.amdhsa_exception_fp_ieee_inexact 0
		.amdhsa_exception_int_div_zero 0
	.end_amdhsa_kernel
	.text
.Lfunc_end0:
	.size	fft_rtc_back_len1080_factors_6_10_6_3_wgs_216_tpt_108_halfLds_dp_op_CI_CI_unitstride_sbrr_R2C_dirReg, .Lfunc_end0-fft_rtc_back_len1080_factors_6_10_6_3_wgs_216_tpt_108_halfLds_dp_op_CI_CI_unitstride_sbrr_R2C_dirReg
                                        ; -- End function
	.section	.AMDGPU.csdata,"",@progbits
; Kernel info:
; codeLenInByte = 9252
; NumSgprs: 41
; NumVgprs: 122
; ScratchSize: 0
; MemoryBound: 0
; FloatMode: 240
; IeeeMode: 1
; LDSByteSize: 0 bytes/workgroup (compile time only)
; SGPRBlocks: 5
; VGPRBlocks: 15
; NumSGPRsForWavesPerEU: 41
; NumVGPRsForWavesPerEU: 122
; Occupancy: 10
; WaveLimiterHint : 1
; COMPUTE_PGM_RSRC2:SCRATCH_EN: 0
; COMPUTE_PGM_RSRC2:USER_SGPR: 2
; COMPUTE_PGM_RSRC2:TRAP_HANDLER: 0
; COMPUTE_PGM_RSRC2:TGID_X_EN: 1
; COMPUTE_PGM_RSRC2:TGID_Y_EN: 0
; COMPUTE_PGM_RSRC2:TGID_Z_EN: 0
; COMPUTE_PGM_RSRC2:TIDIG_COMP_CNT: 0
	.text
	.p2alignl 7, 3214868480
	.fill 96, 4, 3214868480
	.type	__hip_cuid_1d6055a22cdea78,@object ; @__hip_cuid_1d6055a22cdea78
	.section	.bss,"aw",@nobits
	.globl	__hip_cuid_1d6055a22cdea78
__hip_cuid_1d6055a22cdea78:
	.byte	0                               ; 0x0
	.size	__hip_cuid_1d6055a22cdea78, 1

	.ident	"AMD clang version 19.0.0git (https://github.com/RadeonOpenCompute/llvm-project roc-6.4.0 25133 c7fe45cf4b819c5991fe208aaa96edf142730f1d)"
	.section	".note.GNU-stack","",@progbits
	.addrsig
	.addrsig_sym __hip_cuid_1d6055a22cdea78
	.amdgpu_metadata
---
amdhsa.kernels:
  - .args:
      - .actual_access:  read_only
        .address_space:  global
        .offset:         0
        .size:           8
        .value_kind:     global_buffer
      - .offset:         8
        .size:           8
        .value_kind:     by_value
      - .actual_access:  read_only
        .address_space:  global
        .offset:         16
        .size:           8
        .value_kind:     global_buffer
      - .actual_access:  read_only
        .address_space:  global
        .offset:         24
        .size:           8
        .value_kind:     global_buffer
      - .actual_access:  read_only
        .address_space:  global
        .offset:         32
        .size:           8
        .value_kind:     global_buffer
      - .offset:         40
        .size:           8
        .value_kind:     by_value
      - .actual_access:  read_only
        .address_space:  global
        .offset:         48
        .size:           8
        .value_kind:     global_buffer
      - .actual_access:  read_only
        .address_space:  global
        .offset:         56
        .size:           8
        .value_kind:     global_buffer
      - .offset:         64
        .size:           4
        .value_kind:     by_value
      - .actual_access:  read_only
        .address_space:  global
        .offset:         72
        .size:           8
        .value_kind:     global_buffer
      - .actual_access:  read_only
        .address_space:  global
        .offset:         80
        .size:           8
        .value_kind:     global_buffer
      - .actual_access:  read_only
        .address_space:  global
        .offset:         88
        .size:           8
        .value_kind:     global_buffer
      - .actual_access:  write_only
        .address_space:  global
        .offset:         96
        .size:           8
        .value_kind:     global_buffer
    .group_segment_fixed_size: 0
    .kernarg_segment_align: 8
    .kernarg_segment_size: 104
    .language:       OpenCL C
    .language_version:
      - 2
      - 0
    .max_flat_workgroup_size: 216
    .name:           fft_rtc_back_len1080_factors_6_10_6_3_wgs_216_tpt_108_halfLds_dp_op_CI_CI_unitstride_sbrr_R2C_dirReg
    .private_segment_fixed_size: 0
    .sgpr_count:     41
    .sgpr_spill_count: 0
    .symbol:         fft_rtc_back_len1080_factors_6_10_6_3_wgs_216_tpt_108_halfLds_dp_op_CI_CI_unitstride_sbrr_R2C_dirReg.kd
    .uniform_work_group_size: 1
    .uses_dynamic_stack: false
    .vgpr_count:     122
    .vgpr_spill_count: 0
    .wavefront_size: 32
    .workgroup_processor_mode: 1
amdhsa.target:   amdgcn-amd-amdhsa--gfx1201
amdhsa.version:
  - 1
  - 2
...

	.end_amdgpu_metadata
